;; amdgpu-corpus repo=ROCm/rocFFT kind=compiled arch=gfx906 opt=O3
	.text
	.amdgcn_target "amdgcn-amd-amdhsa--gfx906"
	.amdhsa_code_object_version 6
	.protected	bluestein_single_fwd_len25_dim1_dp_op_CI_CI ; -- Begin function bluestein_single_fwd_len25_dim1_dp_op_CI_CI
	.globl	bluestein_single_fwd_len25_dim1_dp_op_CI_CI
	.p2align	8
	.type	bluestein_single_fwd_len25_dim1_dp_op_CI_CI,@function
bluestein_single_fwd_len25_dim1_dp_op_CI_CI: ; @bluestein_single_fwd_len25_dim1_dp_op_CI_CI
; %bb.0:
	v_mul_u32_u24_e32 v1, 0x3334, v0
	s_load_dwordx4 s[12:15], s[4:5], 0x28
	v_lshrrev_b32_e32 v1, 16, v1
	v_mad_u64_u32 v[2:3], s[0:1], s6, 51, v[1:2]
	v_mov_b32_e32 v3, 0
	s_waitcnt lgkmcnt(0)
	v_cmp_gt_u64_e32 vcc, s[12:13], v[2:3]
	s_and_saveexec_b64 s[0:1], vcc
	s_cbranch_execz .LBB0_2
; %bb.1:
	s_load_dwordx4 s[8:11], s[4:5], 0x0
	s_load_dwordx4 s[16:19], s[4:5], 0x18
	s_load_dwordx2 s[12:13], s[4:5], 0x38
	s_mov_b32 s0, 0xa0a0a0a1
	v_mul_hi_u32 v3, v2, s0
	v_mul_lo_u16_e32 v1, 5, v1
	s_waitcnt lgkmcnt(0)
	s_load_dwordx4 s[0:3], s[18:19], 0x0
	v_sub_u16_e32 v39, v0, v1
	v_lshrrev_b32_e32 v3, 5, v3
	v_mul_lo_u32 v3, v3, 51
	v_lshlrev_b32_e32 v40, 4, v39
	s_waitcnt lgkmcnt(0)
	v_mad_u64_u32 v[36:37], s[4:5], s2, v2, 0
	v_sub_u32_e32 v3, v2, v3
	v_mul_u32_u24_e32 v6, 25, v3
	v_mov_b32_e32 v3, v37
	s_load_dwordx4 s[4:7], s[16:17], 0x0
	v_mad_u64_u32 v[3:4], s[2:3], s3, v2, v[3:4]
	global_load_dwordx4 v[16:19], v40, s[8:9]
	v_lshlrev_b32_e32 v20, 4, v6
	v_mov_b32_e32 v37, v3
	s_waitcnt lgkmcnt(0)
	v_mad_u64_u32 v[3:4], s[2:3], s6, v2, 0
	v_mad_u64_u32 v[0:1], s[2:3], s4, v39, 0
	;; [unrolled: 1-line block ×4, first 2 shown]
	v_lshlrev_b64 v[2:3], 4, v[3:4]
	v_mov_b32_e32 v4, s15
	v_add_co_u32_e32 v2, vcc, s14, v2
	v_lshlrev_b64 v[0:1], 4, v[0:1]
	v_addc_co_u32_e32 v3, vcc, v4, v3, vcc
	v_add_co_u32_e32 v8, vcc, v2, v0
	v_addc_co_u32_e32 v9, vcc, v3, v1, vcc
	global_load_dwordx4 v[0:3], v[8:9], off
	s_add_u32 s6, s8, 0x190
	s_mul_i32 s2, s5, 0x50
	s_mul_hi_u32 s3, s4, 0x50
	s_addc_u32 s7, s9, 0
	s_add_i32 s2, s3, s2
	s_mul_i32 s3, s4, 0x50
	v_add_u32_e32 v38, v40, v20
	v_add_co_u32_e32 v8, vcc, s3, v8
	s_mov_b32 s17, 0xbfee6f0e
	s_mov_b32 s4, 0x4755a5e
	;; [unrolled: 1-line block ×7, first 2 shown]
	s_waitcnt vmcnt(0)
	v_mul_f64 v[4:5], v[2:3], v[18:19]
	v_fma_f64 v[4:5], v[0:1], v[16:17], v[4:5]
	v_mul_f64 v[0:1], v[0:1], v[18:19]
	v_fma_f64 v[6:7], v[2:3], v[16:17], -v[0:1]
	v_mov_b32_e32 v0, s2
	v_addc_co_u32_e32 v9, vcc, v9, v0, vcc
	v_add_co_u32_e32 v21, vcc, s3, v8
	ds_write_b128 v38, v[4:7]
	global_load_dwordx4 v[0:3], v[8:9], off
	global_load_dwordx4 v[12:15], v40, s[8:9] offset:80
	s_waitcnt vmcnt(0)
	v_mul_f64 v[4:5], v[2:3], v[14:15]
	v_fma_f64 v[4:5], v[0:1], v[12:13], v[4:5]
	v_mul_f64 v[0:1], v[0:1], v[14:15]
	v_fma_f64 v[6:7], v[2:3], v[12:13], -v[0:1]
	v_mov_b32_e32 v0, s2
	v_addc_co_u32_e32 v22, vcc, v9, v0, vcc
	v_add_co_u32_e32 v25, vcc, s3, v21
	ds_write_b128 v38, v[4:7] offset:80
	global_load_dwordx4 v[0:3], v[21:22], off
	global_load_dwordx4 v[8:11], v40, s[8:9] offset:160
	s_waitcnt vmcnt(0)
	v_mul_f64 v[4:5], v[2:3], v[10:11]
	v_fma_f64 v[4:5], v[0:1], v[8:9], v[4:5]
	v_mul_f64 v[0:1], v[0:1], v[10:11]
	v_fma_f64 v[6:7], v[2:3], v[8:9], -v[0:1]
	v_mov_b32_e32 v0, s2
	v_addc_co_u32_e32 v26, vcc, v22, v0, vcc
	ds_write_b128 v38, v[4:7] offset:160
	global_load_dwordx4 v[0:3], v[25:26], off
	global_load_dwordx4 v[4:7], v40, s[8:9] offset:240
	v_add_co_u32_e32 v25, vcc, s3, v25
	s_waitcnt vmcnt(0)
	v_mul_f64 v[21:22], v[2:3], v[6:7]
	v_fma_f64 v[21:22], v[0:1], v[4:5], v[21:22]
	v_mul_f64 v[0:1], v[0:1], v[6:7]
	v_fma_f64 v[23:24], v[2:3], v[4:5], -v[0:1]
	v_mov_b32_e32 v0, s2
	v_addc_co_u32_e32 v26, vcc, v26, v0, vcc
	s_mov_b32 s2, 0x134454ff
	s_mov_b32 s3, 0x3fee6f0e
	;; [unrolled: 1-line block ×3, first 2 shown]
	ds_write_b128 v38, v[21:24] offset:240
	global_load_dwordx4 v[21:24], v[25:26], off
	global_load_dwordx4 v[0:3], v40, s[8:9] offset:320
	s_waitcnt vmcnt(0)
	v_mul_f64 v[25:26], v[23:24], v[2:3]
	v_fma_f64 v[25:26], v[21:22], v[0:1], v[25:26]
	v_mul_f64 v[21:22], v[21:22], v[2:3]
	v_fma_f64 v[27:28], v[23:24], v[0:1], -v[21:22]
	ds_write_b128 v38, v[25:28] offset:320
	s_waitcnt lgkmcnt(0)
	s_barrier
	ds_read_b128 v[21:24], v38
	ds_read_b128 v[25:28], v38 offset:80
	ds_read_b128 v[29:32], v38 offset:160
	;; [unrolled: 1-line block ×4, first 2 shown]
	s_waitcnt lgkmcnt(0)
	v_add_f64 v[33:34], v[21:22], v[25:26]
	v_add_f64 v[57:58], v[25:26], -v[29:30]
	v_add_f64 v[55:56], v[31:32], -v[43:44]
	;; [unrolled: 1-line block ×5, first 2 shown]
	s_barrier
	v_add_f64 v[33:34], v[33:34], v[29:30]
	v_add_f64 v[57:58], v[57:58], v[59:60]
	v_add_f64 v[59:60], v[29:30], -v[25:26]
	v_add_f64 v[33:34], v[33:34], v[41:42]
	v_add_f64 v[59:60], v[59:60], v[61:62]
	;; [unrolled: 1-line block ×4, first 2 shown]
	v_add_f64 v[29:30], v[29:30], -v[41:42]
	v_fma_f64 v[33:34], v[33:34], -0.5, v[21:22]
	v_fma_f64 v[53:54], v[51:52], s[2:3], v[33:34]
	v_fma_f64 v[33:34], v[51:52], s[16:17], v[33:34]
	;; [unrolled: 1-line block ×6, first 2 shown]
	v_add_f64 v[33:34], v[25:26], v[45:46]
	v_add_f64 v[25:26], v[25:26], -v[45:46]
	v_fma_f64 v[33:34], v[33:34], -0.5, v[21:22]
	v_fma_f64 v[21:22], v[55:56], s[16:17], v[33:34]
	v_fma_f64 v[33:34], v[55:56], s[2:3], v[33:34]
	v_add_f64 v[55:56], v[47:48], -v[43:44]
	v_fma_f64 v[21:22], v[51:52], s[4:5], v[21:22]
	v_fma_f64 v[33:34], v[51:52], s[18:19], v[33:34]
	;; [unrolled: 1-line block ×4, first 2 shown]
	v_add_f64 v[33:34], v[23:24], v[27:28]
	v_add_f64 v[33:34], v[33:34], v[31:32]
	;; [unrolled: 1-line block ×5, first 2 shown]
	v_fma_f64 v[33:34], v[33:34], -0.5, v[23:24]
	v_fma_f64 v[45:46], v[25:26], s[16:17], v[33:34]
	v_fma_f64 v[33:34], v[25:26], s[2:3], v[33:34]
	;; [unrolled: 1-line block ×3, first 2 shown]
	v_add_f64 v[45:46], v[27:28], -v[31:32]
	v_fma_f64 v[33:34], v[29:30], s[4:5], v[33:34]
	v_add_f64 v[45:46], v[45:46], v[55:56]
	v_fma_f64 v[59:60], v[45:46], s[14:15], v[33:34]
	v_add_f64 v[33:34], v[27:28], v[47:48]
	v_add_f64 v[27:28], v[31:32], -v[27:28]
	v_add_f64 v[31:32], v[43:44], -v[47:48]
	v_fma_f64 v[55:56], v[45:46], s[14:15], v[41:42]
	v_fma_f64 v[33:34], v[33:34], -0.5, v[23:24]
	v_add_f64 v[27:28], v[27:28], v[31:32]
	v_fma_f64 v[23:24], v[29:30], s[2:3], v[33:34]
	v_fma_f64 v[29:30], v[29:30], s[16:17], v[33:34]
	v_fma_f64 v[23:24], v[25:26], s[18:19], v[23:24]
	v_fma_f64 v[25:26], v[25:26], s[4:5], v[29:30]
	v_fma_f64 v[23:24], v[27:28], s[14:15], v[23:24]
	v_fma_f64 v[63:64], v[27:28], s[14:15], v[25:26]
	v_mul_lo_u16_e32 v25, 5, v39
	v_lshl_add_u32 v41, v25, 4, v20
	ds_write_b128 v41, v[49:52]
	ds_write_b128 v41, v[53:56] offset:16
	ds_write_b128 v41, v[21:24] offset:32
	;; [unrolled: 1-line block ×4, first 2 shown]
	v_lshlrev_b32_e32 v62, 6, v39
	s_waitcnt lgkmcnt(0)
	s_barrier
	ds_read_b128 v[42:45], v38
	ds_read_b128 v[46:49], v38 offset:80
	ds_read_b128 v[50:53], v38 offset:160
	;; [unrolled: 1-line block ×4, first 2 shown]
	global_load_dwordx4 v[20:23], v62, s[10:11] offset:48
	global_load_dwordx4 v[24:27], v62, s[10:11] offset:32
	;; [unrolled: 1-line block ×3, first 2 shown]
	global_load_dwordx4 v[32:35], v62, s[10:11]
	s_waitcnt vmcnt(0) lgkmcnt(3)
	v_mul_f64 v[62:63], v[48:49], v[34:35]
	v_fma_f64 v[62:63], v[46:47], v[32:33], -v[62:63]
	v_mul_f64 v[46:47], v[46:47], v[34:35]
	v_fma_f64 v[64:65], v[48:49], v[32:33], v[46:47]
	s_waitcnt lgkmcnt(2)
	v_mul_f64 v[46:47], v[52:53], v[30:31]
	v_fma_f64 v[66:67], v[50:51], v[28:29], -v[46:47]
	v_mul_f64 v[46:47], v[50:51], v[30:31]
	v_fma_f64 v[68:69], v[52:53], v[28:29], v[46:47]
	s_waitcnt lgkmcnt(1)
	v_mul_f64 v[46:47], v[56:57], v[26:27]
	v_fma_f64 v[52:53], v[54:55], v[24:25], -v[46:47]
	v_mul_f64 v[46:47], v[54:55], v[26:27]
	v_add_f64 v[54:55], v[62:63], -v[66:67]
	v_add_f64 v[48:49], v[66:67], v[52:53]
	v_fma_f64 v[70:71], v[56:57], v[24:25], v[46:47]
	s_waitcnt lgkmcnt(0)
	v_mul_f64 v[46:47], v[60:61], v[22:23]
	v_fma_f64 v[48:49], v[48:49], -0.5, v[42:43]
	v_add_f64 v[72:73], v[68:69], -v[70:71]
	v_fma_f64 v[56:57], v[58:59], v[20:21], -v[46:47]
	v_mul_f64 v[46:47], v[58:59], v[22:23]
	v_add_f64 v[74:75], v[56:57], -v[52:53]
	v_fma_f64 v[60:61], v[60:61], v[20:21], v[46:47]
	v_add_f64 v[46:47], v[42:43], v[62:63]
	v_add_f64 v[76:77], v[52:53], -v[56:57]
	v_add_f64 v[54:55], v[54:55], v[74:75]
	v_add_f64 v[58:59], v[64:65], -v[60:61]
	;; [unrolled: 2-line block ×3, first 2 shown]
	v_add_f64 v[66:67], v[66:67], -v[52:53]
	v_fma_f64 v[50:51], v[58:59], s[2:3], v[48:49]
	v_fma_f64 v[48:49], v[58:59], s[16:17], v[48:49]
	v_add_f64 v[46:47], v[46:47], v[52:53]
	v_add_f64 v[74:75], v[74:75], v[76:77]
	v_fma_f64 v[50:51], v[72:73], s[4:5], v[50:51]
	v_fma_f64 v[48:49], v[72:73], s[18:19], v[48:49]
	v_add_f64 v[46:47], v[46:47], v[56:57]
	v_fma_f64 v[50:51], v[54:55], s[14:15], v[50:51]
	v_fma_f64 v[54:55], v[54:55], s[14:15], v[48:49]
	v_add_f64 v[48:49], v[62:63], v[56:57]
	v_add_f64 v[62:63], v[62:63], -v[56:57]
	v_fma_f64 v[48:49], v[48:49], -0.5, v[42:43]
	v_fma_f64 v[42:43], v[72:73], s[16:17], v[48:49]
	v_fma_f64 v[48:49], v[72:73], s[2:3], v[48:49]
	v_add_f64 v[72:73], v[68:69], v[70:71]
	v_fma_f64 v[42:43], v[58:59], s[4:5], v[42:43]
	v_fma_f64 v[48:49], v[58:59], s[18:19], v[48:49]
	v_fma_f64 v[72:73], v[72:73], -0.5, v[44:45]
	v_fma_f64 v[42:43], v[74:75], s[14:15], v[42:43]
	v_fma_f64 v[58:59], v[74:75], s[14:15], v[48:49]
	;; [unrolled: 1-line block ×3, first 2 shown]
	v_add_f64 v[74:75], v[60:61], -v[70:71]
	v_fma_f64 v[72:73], v[62:63], s[2:3], v[72:73]
	v_add_f64 v[48:49], v[44:45], v[64:65]
	v_fma_f64 v[52:53], v[66:67], s[18:19], v[56:57]
	v_add_f64 v[56:57], v[64:65], -v[68:69]
	v_fma_f64 v[72:73], v[66:67], s[4:5], v[72:73]
	v_add_f64 v[48:49], v[48:49], v[68:69]
	v_add_f64 v[56:57], v[56:57], v[74:75]
	;; [unrolled: 1-line block ×3, first 2 shown]
	v_fma_f64 v[52:53], v[56:57], s[14:15], v[52:53]
	v_fma_f64 v[56:57], v[56:57], s[14:15], v[72:73]
	v_add_f64 v[72:73], v[64:65], v[60:61]
	v_add_f64 v[48:49], v[48:49], v[60:61]
	v_add_f64 v[64:65], v[68:69], -v[64:65]
	v_add_f64 v[60:61], v[70:71], -v[60:61]
	v_fma_f64 v[72:73], v[72:73], -0.5, v[44:45]
	v_add_f64 v[60:61], v[64:65], v[60:61]
	v_fma_f64 v[44:45], v[66:67], s[2:3], v[72:73]
	v_fma_f64 v[64:65], v[66:67], s[16:17], v[72:73]
	;; [unrolled: 1-line block ×6, first 2 shown]
	ds_write_b128 v38, v[46:49]
	ds_write_b128 v38, v[50:53] offset:80
	ds_write_b128 v38, v[42:45] offset:160
	;; [unrolled: 1-line block ×4, first 2 shown]
	s_waitcnt lgkmcnt(0)
	s_barrier
	global_load_dwordx4 v[46:49], v40, s[8:9] offset:400
	ds_read_b128 v[42:45], v38
	s_waitcnt vmcnt(0) lgkmcnt(0)
	v_mul_f64 v[50:51], v[44:45], v[48:49]
	v_fma_f64 v[50:51], v[42:43], v[46:47], -v[50:51]
	v_mul_f64 v[42:43], v[42:43], v[48:49]
	v_fma_f64 v[52:53], v[44:45], v[46:47], v[42:43]
	global_load_dwordx4 v[46:49], v40, s[6:7] offset:80
	ds_read_b128 v[42:45], v38 offset:80
	ds_write_b128 v38, v[50:53]
	s_waitcnt vmcnt(0) lgkmcnt(1)
	v_mul_f64 v[50:51], v[44:45], v[48:49]
	v_fma_f64 v[50:51], v[42:43], v[46:47], -v[50:51]
	v_mul_f64 v[42:43], v[42:43], v[48:49]
	v_fma_f64 v[52:53], v[44:45], v[46:47], v[42:43]
	global_load_dwordx4 v[46:49], v40, s[6:7] offset:160
	ds_read_b128 v[42:45], v38 offset:160
	ds_write_b128 v38, v[50:53] offset:80
	s_waitcnt vmcnt(0) lgkmcnt(1)
	v_mul_f64 v[50:51], v[44:45], v[48:49]
	v_fma_f64 v[50:51], v[42:43], v[46:47], -v[50:51]
	v_mul_f64 v[42:43], v[42:43], v[48:49]
	v_fma_f64 v[52:53], v[44:45], v[46:47], v[42:43]
	global_load_dwordx4 v[46:49], v40, s[6:7] offset:240
	ds_read_b128 v[42:45], v38 offset:240
	ds_write_b128 v38, v[50:53] offset:160
	;; [unrolled: 8-line block ×3, first 2 shown]
	s_waitcnt vmcnt(0) lgkmcnt(1)
	v_mul_f64 v[50:51], v[44:45], v[48:49]
	v_fma_f64 v[50:51], v[42:43], v[46:47], -v[50:51]
	v_mul_f64 v[42:43], v[42:43], v[48:49]
	v_fma_f64 v[52:53], v[44:45], v[46:47], v[42:43]
	ds_write_b128 v38, v[50:53] offset:320
	s_waitcnt lgkmcnt(0)
	s_barrier
	ds_read_b128 v[42:45], v38
	ds_read_b128 v[46:49], v38 offset:80
	ds_read_b128 v[50:53], v38 offset:160
	;; [unrolled: 1-line block ×4, first 2 shown]
	s_waitcnt lgkmcnt(0)
	v_add_f64 v[62:63], v[42:43], v[46:47]
	v_add_f64 v[70:71], v[46:47], -v[50:51]
	v_add_f64 v[64:65], v[50:51], v[54:55]
	v_add_f64 v[68:69], v[48:49], -v[60:61]
	v_add_f64 v[72:73], v[52:53], -v[56:57]
	;; [unrolled: 1-line block ×4, first 2 shown]
	s_barrier
	v_add_f64 v[62:63], v[62:63], v[50:51]
	v_fma_f64 v[64:65], v[64:65], -0.5, v[42:43]
	v_add_f64 v[70:71], v[70:71], v[74:75]
	v_add_f64 v[74:75], v[50:51], -v[46:47]
	v_add_f64 v[50:51], v[50:51], -v[54:55]
	v_add_f64 v[62:63], v[62:63], v[54:55]
	v_fma_f64 v[66:67], v[68:69], s[16:17], v[64:65]
	v_fma_f64 v[64:65], v[68:69], s[2:3], v[64:65]
	v_add_f64 v[74:75], v[74:75], v[76:77]
	v_add_f64 v[62:63], v[62:63], v[58:59]
	v_fma_f64 v[66:67], v[72:73], s[18:19], v[66:67]
	v_fma_f64 v[64:65], v[72:73], s[4:5], v[64:65]
	v_fma_f64 v[66:67], v[70:71], s[14:15], v[66:67]
	v_fma_f64 v[70:71], v[70:71], s[14:15], v[64:65]
	v_add_f64 v[64:65], v[46:47], v[58:59]
	v_add_f64 v[46:47], v[46:47], -v[58:59]
	v_fma_f64 v[64:65], v[64:65], -0.5, v[42:43]
	v_fma_f64 v[42:43], v[72:73], s[2:3], v[64:65]
	v_fma_f64 v[64:65], v[72:73], s[16:17], v[64:65]
	;; [unrolled: 1-line block ×4, first 2 shown]
	v_add_f64 v[68:69], v[52:53], v[56:57]
	v_fma_f64 v[42:43], v[74:75], s[14:15], v[42:43]
	v_fma_f64 v[74:75], v[74:75], s[14:15], v[64:65]
	v_fma_f64 v[72:73], v[68:69], -0.5, v[44:45]
	v_add_f64 v[68:69], v[60:61], -v[56:57]
	v_add_f64 v[64:65], v[44:45], v[48:49]
	v_fma_f64 v[58:59], v[46:47], s[2:3], v[72:73]
	v_add_f64 v[64:65], v[64:65], v[52:53]
	v_fma_f64 v[54:55], v[50:51], s[4:5], v[58:59]
	v_add_f64 v[58:59], v[48:49], -v[52:53]
	v_add_f64 v[64:65], v[64:65], v[56:57]
	v_add_f64 v[58:59], v[58:59], v[68:69]
	;; [unrolled: 1-line block ×3, first 2 shown]
	v_fma_f64 v[68:69], v[58:59], s[14:15], v[54:55]
	v_fma_f64 v[54:55], v[46:47], s[16:17], v[72:73]
	;; [unrolled: 1-line block ×4, first 2 shown]
	v_add_f64 v[54:55], v[48:49], v[60:61]
	v_add_f64 v[48:49], v[52:53], -v[48:49]
	v_add_f64 v[52:53], v[56:57], -v[60:61]
	v_fma_f64 v[54:55], v[54:55], -0.5, v[44:45]
	v_add_f64 v[48:49], v[48:49], v[52:53]
	v_fma_f64 v[44:45], v[50:51], s[16:17], v[54:55]
	v_fma_f64 v[50:51], v[50:51], s[2:3], v[54:55]
	;; [unrolled: 1-line block ×6, first 2 shown]
	ds_write_b128 v41, v[62:65]
	ds_write_b128 v41, v[66:69] offset:16
	ds_write_b128 v41, v[42:45] offset:32
	;; [unrolled: 1-line block ×4, first 2 shown]
	s_waitcnt lgkmcnt(0)
	s_barrier
	ds_read_b128 v[40:43], v38
	ds_read_b128 v[44:47], v38 offset:80
	ds_read_b128 v[48:51], v38 offset:160
	;; [unrolled: 1-line block ×4, first 2 shown]
	s_waitcnt lgkmcnt(3)
	v_mul_f64 v[60:61], v[34:35], v[46:47]
	v_mul_f64 v[34:35], v[34:35], v[44:45]
	v_fma_f64 v[60:61], v[32:33], v[44:45], v[60:61]
	v_fma_f64 v[34:35], v[32:33], v[46:47], -v[34:35]
	s_waitcnt lgkmcnt(2)
	v_mul_f64 v[32:33], v[30:31], v[50:51]
	v_mul_f64 v[30:31], v[30:31], v[48:49]
	v_fma_f64 v[44:45], v[28:29], v[48:49], v[32:33]
	v_fma_f64 v[46:47], v[28:29], v[50:51], -v[30:31]
	;; [unrolled: 5-line block ×3, first 2 shown]
	s_waitcnt lgkmcnt(0)
	v_mul_f64 v[24:25], v[22:23], v[58:59]
	v_mul_f64 v[22:23], v[22:23], v[56:57]
	v_add_f64 v[28:29], v[60:61], -v[44:45]
	v_add_f64 v[54:55], v[46:47], -v[48:49]
	v_fma_f64 v[26:27], v[20:21], v[56:57], v[24:25]
	v_fma_f64 v[50:51], v[20:21], v[58:59], -v[22:23]
	v_add_f64 v[22:23], v[44:45], v[30:31]
	v_add_f64 v[20:21], v[40:41], v[60:61]
	v_add_f64 v[32:33], v[26:27], -v[30:31]
	v_add_f64 v[52:53], v[34:35], -v[50:51]
	v_fma_f64 v[22:23], v[22:23], -0.5, v[40:41]
	v_add_f64 v[20:21], v[20:21], v[44:45]
	v_add_f64 v[56:57], v[30:31], -v[26:27]
	v_add_f64 v[28:29], v[28:29], v[32:33]
	v_fma_f64 v[24:25], v[52:53], s[16:17], v[22:23]
	v_fma_f64 v[22:23], v[52:53], s[2:3], v[22:23]
	v_add_f64 v[20:21], v[20:21], v[30:31]
	v_fma_f64 v[24:25], v[54:55], s[18:19], v[24:25]
	v_fma_f64 v[22:23], v[54:55], s[4:5], v[22:23]
	v_add_f64 v[20:21], v[20:21], v[26:27]
	v_fma_f64 v[24:25], v[28:29], s[14:15], v[24:25]
	v_fma_f64 v[28:29], v[28:29], s[14:15], v[22:23]
	v_add_f64 v[22:23], v[60:61], v[26:27]
	v_fma_f64 v[22:23], v[22:23], -0.5, v[40:41]
	v_add_f64 v[40:41], v[44:45], -v[60:61]
	v_add_f64 v[44:45], v[44:45], -v[30:31]
	;; [unrolled: 1-line block ×3, first 2 shown]
	v_fma_f64 v[32:33], v[54:55], s[2:3], v[22:23]
	v_fma_f64 v[22:23], v[54:55], s[16:17], v[22:23]
	v_add_f64 v[54:55], v[60:61], -v[26:27]
	v_add_f64 v[40:41], v[40:41], v[56:57]
	v_add_f64 v[56:57], v[50:51], -v[48:49]
	v_fma_f64 v[32:33], v[52:53], s[18:19], v[32:33]
	v_fma_f64 v[22:23], v[52:53], s[4:5], v[22:23]
	v_add_f64 v[52:53], v[46:47], v[48:49]
	v_add_f64 v[30:31], v[30:31], v[56:57]
	v_fma_f64 v[32:33], v[40:41], s[14:15], v[32:33]
	v_fma_f64 v[40:41], v[40:41], s[14:15], v[22:23]
	v_fma_f64 v[52:53], v[52:53], -0.5, v[42:43]
	v_add_f64 v[22:23], v[42:43], v[34:35]
	v_fma_f64 v[26:27], v[54:55], s[2:3], v[52:53]
	v_fma_f64 v[52:53], v[54:55], s[16:17], v[52:53]
	v_add_f64 v[22:23], v[22:23], v[46:47]
	v_fma_f64 v[26:27], v[44:45], s[4:5], v[26:27]
	v_fma_f64 v[52:53], v[44:45], s[18:19], v[52:53]
	;; [unrolled: 3-line block ×3, first 2 shown]
	v_add_f64 v[52:53], v[34:35], v[50:51]
	v_add_f64 v[34:35], v[46:47], -v[34:35]
	v_add_f64 v[46:47], v[48:49], -v[50:51]
	v_add_f64 v[22:23], v[22:23], v[50:51]
	v_fma_f64 v[42:43], v[52:53], -0.5, v[42:43]
	v_add_f64 v[46:47], v[34:35], v[46:47]
	v_fma_f64 v[52:53], v[44:45], s[16:17], v[42:43]
	v_fma_f64 v[42:43], v[44:45], s[2:3], v[42:43]
	s_mov_b32 s2, 0x47ae147b
	s_mov_b32 s3, 0x3fa47ae1
	v_fma_f64 v[52:53], v[54:55], s[4:5], v[52:53]
	v_fma_f64 v[42:43], v[54:55], s[18:19], v[42:43]
	v_fma_f64 v[34:35], v[46:47], s[14:15], v[52:53]
	v_fma_f64 v[42:43], v[46:47], s[14:15], v[42:43]
	ds_write_b128 v38, v[20:23]
	ds_write_b128 v38, v[24:27] offset:80
	ds_write_b128 v38, v[32:35] offset:160
	;; [unrolled: 1-line block ×4, first 2 shown]
	s_waitcnt lgkmcnt(0)
	s_barrier
	ds_read_b128 v[20:23], v38
	s_waitcnt lgkmcnt(0)
	v_mul_f64 v[24:25], v[18:19], v[22:23]
	v_mul_f64 v[18:19], v[18:19], v[20:21]
	v_fma_f64 v[24:25], v[16:17], v[20:21], v[24:25]
	v_fma_f64 v[16:17], v[16:17], v[22:23], -v[18:19]
	v_mov_b32_e32 v20, s13
	v_mul_f64 v[24:25], v[24:25], s[2:3]
	v_mul_f64 v[26:27], v[16:17], s[2:3]
	v_mad_u64_u32 v[16:17], s[4:5], s0, v39, 0
	v_mad_u64_u32 v[17:18], s[4:5], s1, v39, v[17:18]
	v_lshlrev_b64 v[18:19], 4, v[36:37]
	s_mulk_i32 s1, 0x50
	v_add_co_u32_e32 v18, vcc, s12, v18
	v_lshlrev_b64 v[16:17], 4, v[16:17]
	v_addc_co_u32_e32 v19, vcc, v20, v19, vcc
	v_add_co_u32_e32 v28, vcc, v18, v16
	v_addc_co_u32_e32 v29, vcc, v19, v17, vcc
	ds_read_b128 v[16:19], v38 offset:80
	s_mul_hi_u32 s4, s0, 0x50
	s_add_i32 s1, s4, s1
	s_mulk_i32 s0, 0x50
	global_store_dwordx4 v[28:29], v[24:27], off
	s_waitcnt lgkmcnt(0)
	v_mul_f64 v[20:21], v[14:15], v[18:19]
	v_mul_f64 v[14:15], v[14:15], v[16:17]
	v_add_co_u32_e32 v24, vcc, s0, v28
	v_fma_f64 v[20:21], v[12:13], v[16:17], v[20:21]
	v_fma_f64 v[12:13], v[12:13], v[18:19], -v[14:15]
	v_mul_f64 v[20:21], v[20:21], s[2:3]
	v_mul_f64 v[22:23], v[12:13], s[2:3]
	v_mov_b32_e32 v12, s1
	v_addc_co_u32_e32 v25, vcc, v29, v12, vcc
	ds_read_b128 v[12:15], v38 offset:160
	global_store_dwordx4 v[24:25], v[20:23], off
	s_waitcnt lgkmcnt(0)
	v_mul_f64 v[16:17], v[10:11], v[14:15]
	v_mul_f64 v[10:11], v[10:11], v[12:13]
	v_add_co_u32_e32 v20, vcc, s0, v24
	v_fma_f64 v[16:17], v[8:9], v[12:13], v[16:17]
	v_fma_f64 v[8:9], v[8:9], v[14:15], -v[10:11]
	v_mul_f64 v[16:17], v[16:17], s[2:3]
	v_mul_f64 v[18:19], v[8:9], s[2:3]
	v_mov_b32_e32 v8, s1
	v_addc_co_u32_e32 v21, vcc, v25, v8, vcc
	ds_read_b128 v[8:11], v38 offset:240
	;; [unrolled: 12-line block ×3, first 2 shown]
	global_store_dwordx4 v[16:17], v[12:15], off
	s_waitcnt lgkmcnt(0)
	v_mul_f64 v[8:9], v[2:3], v[6:7]
	v_mul_f64 v[2:3], v[2:3], v[4:5]
	v_fma_f64 v[8:9], v[0:1], v[4:5], v[8:9]
	v_fma_f64 v[0:1], v[0:1], v[6:7], -v[2:3]
	v_mul_f64 v[8:9], v[8:9], s[2:3]
	v_mul_f64 v[10:11], v[0:1], s[2:3]
	v_add_co_u32_e32 v0, vcc, s0, v16
	v_mov_b32_e32 v1, s1
	v_addc_co_u32_e32 v1, vcc, v17, v1, vcc
	global_store_dwordx4 v[0:1], v[8:11], off
.LBB0_2:
	s_endpgm
	.section	.rodata,"a",@progbits
	.p2align	6, 0x0
	.amdhsa_kernel bluestein_single_fwd_len25_dim1_dp_op_CI_CI
		.amdhsa_group_segment_fixed_size 20400
		.amdhsa_private_segment_fixed_size 0
		.amdhsa_kernarg_size 104
		.amdhsa_user_sgpr_count 6
		.amdhsa_user_sgpr_private_segment_buffer 1
		.amdhsa_user_sgpr_dispatch_ptr 0
		.amdhsa_user_sgpr_queue_ptr 0
		.amdhsa_user_sgpr_kernarg_segment_ptr 1
		.amdhsa_user_sgpr_dispatch_id 0
		.amdhsa_user_sgpr_flat_scratch_init 0
		.amdhsa_user_sgpr_private_segment_size 0
		.amdhsa_uses_dynamic_stack 0
		.amdhsa_system_sgpr_private_segment_wavefront_offset 0
		.amdhsa_system_sgpr_workgroup_id_x 1
		.amdhsa_system_sgpr_workgroup_id_y 0
		.amdhsa_system_sgpr_workgroup_id_z 0
		.amdhsa_system_sgpr_workgroup_info 0
		.amdhsa_system_vgpr_workitem_id 0
		.amdhsa_next_free_vgpr 78
		.amdhsa_next_free_sgpr 20
		.amdhsa_reserve_vcc 1
		.amdhsa_reserve_flat_scratch 0
		.amdhsa_float_round_mode_32 0
		.amdhsa_float_round_mode_16_64 0
		.amdhsa_float_denorm_mode_32 3
		.amdhsa_float_denorm_mode_16_64 3
		.amdhsa_dx10_clamp 1
		.amdhsa_ieee_mode 1
		.amdhsa_fp16_overflow 0
		.amdhsa_exception_fp_ieee_invalid_op 0
		.amdhsa_exception_fp_denorm_src 0
		.amdhsa_exception_fp_ieee_div_zero 0
		.amdhsa_exception_fp_ieee_overflow 0
		.amdhsa_exception_fp_ieee_underflow 0
		.amdhsa_exception_fp_ieee_inexact 0
		.amdhsa_exception_int_div_zero 0
	.end_amdhsa_kernel
	.text
.Lfunc_end0:
	.size	bluestein_single_fwd_len25_dim1_dp_op_CI_CI, .Lfunc_end0-bluestein_single_fwd_len25_dim1_dp_op_CI_CI
                                        ; -- End function
	.section	.AMDGPU.csdata,"",@progbits
; Kernel info:
; codeLenInByte = 4000
; NumSgprs: 24
; NumVgprs: 78
; ScratchSize: 0
; MemoryBound: 0
; FloatMode: 240
; IeeeMode: 1
; LDSByteSize: 20400 bytes/workgroup (compile time only)
; SGPRBlocks: 2
; VGPRBlocks: 19
; NumSGPRsForWavesPerEU: 24
; NumVGPRsForWavesPerEU: 78
; Occupancy: 3
; WaveLimiterHint : 1
; COMPUTE_PGM_RSRC2:SCRATCH_EN: 0
; COMPUTE_PGM_RSRC2:USER_SGPR: 6
; COMPUTE_PGM_RSRC2:TRAP_HANDLER: 0
; COMPUTE_PGM_RSRC2:TGID_X_EN: 1
; COMPUTE_PGM_RSRC2:TGID_Y_EN: 0
; COMPUTE_PGM_RSRC2:TGID_Z_EN: 0
; COMPUTE_PGM_RSRC2:TIDIG_COMP_CNT: 0
	.type	__hip_cuid_1cc0803d108f23fb,@object ; @__hip_cuid_1cc0803d108f23fb
	.section	.bss,"aw",@nobits
	.globl	__hip_cuid_1cc0803d108f23fb
__hip_cuid_1cc0803d108f23fb:
	.byte	0                               ; 0x0
	.size	__hip_cuid_1cc0803d108f23fb, 1

	.ident	"AMD clang version 19.0.0git (https://github.com/RadeonOpenCompute/llvm-project roc-6.4.0 25133 c7fe45cf4b819c5991fe208aaa96edf142730f1d)"
	.section	".note.GNU-stack","",@progbits
	.addrsig
	.addrsig_sym __hip_cuid_1cc0803d108f23fb
	.amdgpu_metadata
---
amdhsa.kernels:
  - .args:
      - .actual_access:  read_only
        .address_space:  global
        .offset:         0
        .size:           8
        .value_kind:     global_buffer
      - .actual_access:  read_only
        .address_space:  global
        .offset:         8
        .size:           8
        .value_kind:     global_buffer
      - .actual_access:  read_only
        .address_space:  global
        .offset:         16
        .size:           8
        .value_kind:     global_buffer
      - .actual_access:  read_only
        .address_space:  global
        .offset:         24
        .size:           8
        .value_kind:     global_buffer
      - .actual_access:  read_only
        .address_space:  global
        .offset:         32
        .size:           8
        .value_kind:     global_buffer
      - .offset:         40
        .size:           8
        .value_kind:     by_value
      - .address_space:  global
        .offset:         48
        .size:           8
        .value_kind:     global_buffer
      - .address_space:  global
        .offset:         56
        .size:           8
        .value_kind:     global_buffer
      - .address_space:  global
        .offset:         64
        .size:           8
        .value_kind:     global_buffer
      - .address_space:  global
        .offset:         72
        .size:           8
        .value_kind:     global_buffer
      - .offset:         80
        .size:           4
        .value_kind:     by_value
      - .address_space:  global
        .offset:         88
        .size:           8
        .value_kind:     global_buffer
      - .address_space:  global
        .offset:         96
        .size:           8
        .value_kind:     global_buffer
    .group_segment_fixed_size: 20400
    .kernarg_segment_align: 8
    .kernarg_segment_size: 104
    .language:       OpenCL C
    .language_version:
      - 2
      - 0
    .max_flat_workgroup_size: 255
    .name:           bluestein_single_fwd_len25_dim1_dp_op_CI_CI
    .private_segment_fixed_size: 0
    .sgpr_count:     24
    .sgpr_spill_count: 0
    .symbol:         bluestein_single_fwd_len25_dim1_dp_op_CI_CI.kd
    .uniform_work_group_size: 1
    .uses_dynamic_stack: false
    .vgpr_count:     78
    .vgpr_spill_count: 0
    .wavefront_size: 64
amdhsa.target:   amdgcn-amd-amdhsa--gfx906
amdhsa.version:
  - 1
  - 2
...

	.end_amdgpu_metadata
